;; amdgpu-corpus repo=ROCm/rocFFT kind=compiled arch=gfx1030 opt=O3
	.text
	.amdgcn_target "amdgcn-amd-amdhsa--gfx1030"
	.amdhsa_code_object_version 6
	.protected	bluestein_single_back_len560_dim1_dp_op_CI_CI ; -- Begin function bluestein_single_back_len560_dim1_dp_op_CI_CI
	.globl	bluestein_single_back_len560_dim1_dp_op_CI_CI
	.p2align	8
	.type	bluestein_single_back_len560_dim1_dp_op_CI_CI,@function
bluestein_single_back_len560_dim1_dp_op_CI_CI: ; @bluestein_single_back_len560_dim1_dp_op_CI_CI
; %bb.0:
	s_load_dwordx4 s[8:11], s[4:5], 0x28
	v_mul_u32_u24_e32 v1, 0x493, v0
	v_mov_b32_e32 v165, 0
	s_mov_b32 s0, exec_lo
	v_lshrrev_b32_e32 v1, 16, v1
	v_add_nc_u32_e32 v164, s6, v1
	s_waitcnt lgkmcnt(0)
	v_cmpx_gt_u64_e64 s[8:9], v[164:165]
	s_cbranch_execz .LBB0_23
; %bb.1:
	s_clause 0x1
	s_load_dwordx4 s[0:3], s[4:5], 0x18
	s_load_dwordx2 s[6:7], s[4:5], 0x0
	v_mul_lo_u16 v1, v1, 56
	v_sub_nc_u16 v100, v0, v1
	v_and_b32_e32 v167, 0xffff, v100
	v_lshlrev_b32_e32 v165, 4, v167
	v_or_b32_e32 v166, 0x150, v167
	s_waitcnt lgkmcnt(0)
	s_load_dwordx4 s[12:15], s[0:1], 0x0
	v_add_co_u32 v156, s0, s6, v165
	v_add_co_ci_u32_e64 v157, null, s7, 0, s0
	v_add_co_u32 v160, vcc_lo, 0x800, v156
	v_add_co_ci_u32_e32 v161, vcc_lo, 0, v157, vcc_lo
	v_add_co_u32 v162, vcc_lo, 0x1000, v156
	v_add_co_ci_u32_e32 v163, vcc_lo, 0, v157, vcc_lo
	s_waitcnt lgkmcnt(0)
	v_mad_u64_u32 v[8:9], null, s14, v164, 0
	v_mad_u64_u32 v[10:11], null, s12, v167, 0
	s_mul_i32 s1, s13, 0x46
	s_mul_hi_u32 s8, s12, 0x46
	s_mul_i32 s0, s12, 0x46
	s_add_i32 s1, s8, s1
	v_mov_b32_e32 v0, v9
	s_lshl_b64 s[16:17], s[0:1], 4
	v_mov_b32_e32 v9, v11
	v_mad_u64_u32 v[11:12], null, s15, v164, v[0:1]
	v_mad_u64_u32 v[12:13], null, s13, v167, v[9:10]
	s_clause 0x1
	global_load_dwordx4 v[0:3], v165, s[6:7]
	global_load_dwordx4 v[4:7], v165, s[6:7] offset:1120
	v_mov_b32_e32 v9, v11
	v_mov_b32_e32 v11, v12
	v_lshlrev_b64 v[8:9], 4, v[8:9]
	v_lshlrev_b64 v[10:11], 4, v[10:11]
	v_add_co_u32 v34, vcc_lo, s10, v8
	v_add_co_ci_u32_e32 v35, vcc_lo, s11, v9, vcc_lo
	v_add_co_u32 v24, vcc_lo, v34, v10
	v_add_co_ci_u32_e32 v25, vcc_lo, v35, v11, vcc_lo
	s_clause 0x1
	global_load_dwordx4 v[16:19], v[160:161], off offset:192
	global_load_dwordx4 v[8:11], v[160:161], off offset:1312
	v_add_co_u32 v26, vcc_lo, v24, s16
	v_add_co_ci_u32_e32 v27, vcc_lo, s17, v25, vcc_lo
	v_add_co_u32 v158, vcc_lo, 0x1800, v156
	v_add_co_ci_u32_e32 v159, vcc_lo, 0, v157, vcc_lo
	;; [unrolled: 2-line block ×3, first 2 shown]
	s_clause 0x1
	global_load_dwordx4 v[20:23], v[162:163], off offset:384
	global_load_dwordx4 v[12:15], v[162:163], off offset:1504
	v_add_co_u32 v30, vcc_lo, v28, s16
	v_add_co_ci_u32_e32 v31, vcc_lo, s17, v29, vcc_lo
	s_clause 0x1
	global_load_dwordx4 v[36:39], v[24:25], off
	global_load_dwordx4 v[40:43], v[26:27], off
	v_add_co_u32 v32, vcc_lo, v30, s16
	v_add_co_ci_u32_e32 v33, vcc_lo, s17, v31, vcc_lo
	s_clause 0x1
	global_load_dwordx4 v[44:47], v[28:29], off
	global_load_dwordx4 v[48:51], v[30:31], off
	v_add_co_u32 v24, vcc_lo, v32, s16
	v_add_co_ci_u32_e32 v25, vcc_lo, s17, v33, vcc_lo
	global_load_dwordx4 v[52:55], v[32:33], off
	v_add_co_u32 v26, vcc_lo, v24, s16
	v_add_co_ci_u32_e32 v27, vcc_lo, s17, v25, vcc_lo
	v_add_co_u32 v32, vcc_lo, v26, s16
	v_add_co_ci_u32_e32 v33, vcc_lo, s17, v27, vcc_lo
	global_load_dwordx4 v[56:59], v[24:25], off
	global_load_dwordx4 v[60:63], v[26:27], off
	s_clause 0x1
	global_load_dwordx4 v[24:27], v[158:159], off offset:576
	global_load_dwordx4 v[28:31], v[158:159], off offset:1696
	global_load_dwordx4 v[64:67], v[32:33], off
	s_load_dwordx2 s[14:15], s[4:5], 0x38
	s_load_dwordx4 s[8:11], s[2:3], 0x0
	v_cmp_gt_u16_e32 vcc_lo, 14, v100
	s_waitcnt vmcnt(9)
	v_mul_f64 v[68:69], v[38:39], v[2:3]
	v_mul_f64 v[70:71], v[36:37], v[2:3]
	s_waitcnt vmcnt(8)
	v_mul_f64 v[72:73], v[42:43], v[6:7]
	v_mul_f64 v[74:75], v[40:41], v[6:7]
	;; [unrolled: 3-line block ×8, first 2 shown]
	v_fma_f64 v[36:37], v[36:37], v[0:1], v[68:69]
	v_fma_f64 v[38:39], v[38:39], v[0:1], -v[70:71]
	v_fma_f64 v[40:41], v[40:41], v[4:5], v[72:73]
	v_fma_f64 v[42:43], v[42:43], v[4:5], -v[74:75]
	;; [unrolled: 2-line block ×4, first 2 shown]
	ds_write_b128 v165, v[36:39]
	ds_write_b128 v165, v[40:43] offset:1120
	ds_write_b128 v165, v[44:47] offset:2240
	;; [unrolled: 1-line block ×3, first 2 shown]
	v_fma_f64 v[52:53], v[52:53], v[20:21], v[84:85]
	v_fma_f64 v[54:55], v[54:55], v[20:21], -v[86:87]
	v_fma_f64 v[56:57], v[56:57], v[12:13], v[88:89]
	v_fma_f64 v[58:59], v[58:59], v[12:13], -v[90:91]
	;; [unrolled: 2-line block ×4, first 2 shown]
	ds_write_b128 v165, v[52:55] offset:4480
	ds_write_b128 v165, v[56:59] offset:5600
	;; [unrolled: 1-line block ×4, first 2 shown]
	s_and_saveexec_b32 s1, vcc_lo
	s_cbranch_execz .LBB0_3
; %bb.2:
	v_mad_u64_u32 v[32:33], null, 0xffffe4e0, s12, v[32:33]
	s_mul_i32 s0, s13, 0xffffe4e0
	v_mad_u64_u32 v[66:67], null, s12, v166, 0
	s_sub_i32 s0, s0, s12
	v_lshlrev_b32_e32 v58, 4, v166
	v_add_nc_u32_e32 v33, s0, v33
	v_add_co_u32 v64, s0, v32, s16
	v_mov_b32_e32 v36, v67
	v_add_co_ci_u32_e64 v65, s0, s17, v33, s0
	v_add_co_u32 v68, s0, v64, s16
	v_mad_u64_u32 v[56:57], null, s13, v166, v[36:37]
	v_add_co_ci_u32_e64 v69, s0, s17, v65, s0
	v_add_co_u32 v72, s0, v68, s16
	s_clause 0x2
	global_load_dwordx4 v[36:39], v[156:157], off offset:896
	global_load_dwordx4 v[40:43], v[156:157], off offset:2016
	;; [unrolled: 1-line block ×3, first 2 shown]
	v_add_co_ci_u32_e64 v73, s0, s17, v69, s0
	v_mov_b32_e32 v67, v56
	s_clause 0x1
	global_load_dwordx4 v[48:51], v[162:163], off offset:160
	global_load_dwordx4 v[52:55], v[158:159], off offset:352
	v_add_co_u32 v88, s0, 0x2000, v156
	v_mad_u64_u32 v[76:77], null, 0x8c0, s12, v[72:73]
	v_add_co_ci_u32_e64 v89, s0, 0, v157, s0
	v_mov_b32_e32 v57, v77
	v_mad_u64_u32 v[77:78], null, 0x8c0, s13, v[57:58]
	global_load_dwordx4 v[56:59], v58, s[6:7]
	global_load_dwordx4 v[60:63], v[32:33], off
	v_lshlrev_b64 v[32:33], 4, v[66:67]
	global_load_dwordx4 v[64:67], v[64:65], off
	global_load_dwordx4 v[68:71], v[68:69], off
	;; [unrolled: 1-line block ×3, first 2 shown]
	v_add_co_u32 v32, s0, v34, v32
	v_add_co_ci_u32_e64 v33, s0, v35, v33, s0
	v_add_co_u32 v84, s0, v76, s16
	v_add_co_ci_u32_e64 v85, s0, s17, v77, s0
	global_load_dwordx4 v[32:35], v[32:33], off
	v_add_co_u32 v92, s0, v84, s16
	v_add_co_ci_u32_e64 v93, s0, s17, v85, s0
	global_load_dwordx4 v[76:79], v[76:77], off
	global_load_dwordx4 v[80:83], v[158:159], off offset:1472
	global_load_dwordx4 v[84:87], v[84:85], off
	global_load_dwordx4 v[88:91], v[88:89], off offset:544
	global_load_dwordx4 v[92:95], v[92:93], off
	s_waitcnt vmcnt(8)
	v_mul_f64 v[98:99], v[66:67], v[42:43]
	v_mul_f64 v[96:97], v[62:63], v[38:39]
	;; [unrolled: 1-line block ×4, first 2 shown]
	s_waitcnt vmcnt(7)
	v_mul_f64 v[100:101], v[70:71], v[46:47]
	v_mul_f64 v[46:47], v[68:69], v[46:47]
	s_waitcnt vmcnt(6)
	v_mul_f64 v[102:103], v[74:75], v[50:51]
	v_mul_f64 v[50:51], v[72:73], v[50:51]
	;; [unrolled: 3-line block ×6, first 2 shown]
	v_fma_f64 v[58:59], v[60:61], v[36:37], v[96:97]
	v_fma_f64 v[60:61], v[62:63], v[36:37], -v[38:39]
	v_fma_f64 v[36:37], v[64:65], v[40:41], v[98:99]
	v_fma_f64 v[38:39], v[66:67], v[40:41], -v[42:43]
	;; [unrolled: 2-line block ×8, first 2 shown]
	ds_write_b128 v165, v[58:61] offset:896
	ds_write_b128 v165, v[36:39] offset:2016
	;; [unrolled: 1-line block ×8, first 2 shown]
.LBB0_3:
	s_or_b32 exec_lo, exec_lo, s1
	s_waitcnt lgkmcnt(0)
	s_barrier
	buffer_gl0_inv
	ds_read_b128 v[44:47], v165
	ds_read_b128 v[32:35], v165 offset:1120
	ds_read_b128 v[48:51], v165 offset:2240
	;; [unrolled: 1-line block ×7, first 2 shown]
                                        ; implicit-def: $vgpr40_vgpr41
                                        ; implicit-def: $vgpr56_vgpr57
                                        ; implicit-def: $vgpr64_vgpr65
                                        ; implicit-def: $vgpr76_vgpr77
                                        ; implicit-def: $vgpr72_vgpr73
                                        ; implicit-def: $vgpr68_vgpr69
                                        ; implicit-def: $vgpr60_vgpr61
                                        ; implicit-def: $vgpr52_vgpr53
	s_and_saveexec_b32 s0, vcc_lo
	s_cbranch_execz .LBB0_5
; %bb.4:
	ds_read_b128 v[40:43], v165 offset:896
	ds_read_b128 v[52:55], v165 offset:2016
	;; [unrolled: 1-line block ×8, first 2 shown]
.LBB0_5:
	s_or_b32 exec_lo, exec_lo, s0
	s_waitcnt lgkmcnt(3)
	v_add_f64 v[92:93], v[44:45], -v[92:93]
	v_add_f64 v[94:95], v[46:47], -v[94:95]
	s_waitcnt lgkmcnt(1)
	v_add_f64 v[88:89], v[48:49], -v[88:89]
	v_add_f64 v[90:91], v[50:51], -v[90:91]
	;; [unrolled: 1-line block ×4, first 2 shown]
	s_waitcnt lgkmcnt(0)
	v_add_f64 v[80:81], v[36:37], -v[80:81]
	v_add_f64 v[82:83], v[38:39], -v[82:83]
	;; [unrolled: 1-line block ×10, first 2 shown]
	s_mov_b32 s0, 0x667f3bcd
	s_mov_b32 s1, 0xbfe6a09e
	;; [unrolled: 1-line block ×4, first 2 shown]
	s_barrier
	v_fma_f64 v[44:45], v[44:45], 2.0, -v[92:93]
	v_fma_f64 v[46:47], v[46:47], 2.0, -v[94:95]
	v_add_f64 v[98:99], v[94:95], v[88:89]
	v_add_f64 v[96:97], v[92:93], -v[90:91]
	v_fma_f64 v[48:49], v[48:49], 2.0, -v[88:89]
	v_fma_f64 v[50:51], v[50:51], 2.0, -v[90:91]
	;; [unrolled: 1-line block ×4, first 2 shown]
	v_add_f64 v[82:83], v[84:85], -v[82:83]
	v_add_f64 v[80:81], v[86:87], v[80:81]
	v_fma_f64 v[40:41], v[40:41], 2.0, -v[68:69]
	v_fma_f64 v[42:43], v[42:43], 2.0, -v[70:71]
	;; [unrolled: 1-line block ×6, first 2 shown]
	v_add_f64 v[100:101], v[68:69], -v[74:75]
	v_add_f64 v[102:103], v[72:73], v[70:71]
	v_fma_f64 v[60:61], v[60:61], 2.0, -v[76:77]
	v_fma_f64 v[62:63], v[62:63], 2.0, -v[78:79]
	v_add_f64 v[78:79], v[64:65], -v[78:79]
	v_add_f64 v[76:77], v[76:77], v[66:67]
	v_fma_f64 v[32:33], v[32:33], 2.0, -v[84:85]
	v_fma_f64 v[34:35], v[34:35], 2.0, -v[86:87]
	;; [unrolled: 1-line block ×4, first 2 shown]
	v_add_f64 v[48:49], v[44:45], -v[48:49]
	v_add_f64 v[50:51], v[46:47], -v[50:51]
	buffer_gl0_inv
	v_fma_f64 v[84:85], v[84:85], 2.0, -v[82:83]
	v_fma_f64 v[86:87], v[86:87], 2.0, -v[80:81]
	v_add_f64 v[108:109], v[40:41], -v[56:57]
	v_add_f64 v[110:111], v[42:43], -v[58:59]
	v_fma_f64 v[56:57], v[82:83], s[2:3], v[96:97]
	v_fma_f64 v[58:59], v[80:81], s[2:3], v[98:99]
	v_fma_f64 v[112:113], v[68:69], 2.0, -v[100:101]
	v_fma_f64 v[114:115], v[70:71], 2.0, -v[102:103]
	v_add_f64 v[60:61], v[52:53], -v[60:61]
	v_add_f64 v[62:63], v[54:55], -v[62:63]
	v_fma_f64 v[64:65], v[64:65], 2.0, -v[78:79]
	v_fma_f64 v[66:67], v[66:67], 2.0, -v[76:77]
	v_add_f64 v[36:37], v[32:33], -v[36:37]
	v_add_f64 v[38:39], v[34:35], -v[38:39]
	v_fma_f64 v[68:69], v[78:79], s[2:3], v[100:101]
	v_fma_f64 v[70:71], v[76:77], s[2:3], v[102:103]
	v_fma_f64 v[116:117], v[44:45], 2.0, -v[48:49]
	v_fma_f64 v[118:119], v[46:47], 2.0, -v[50:51]
	v_fma_f64 v[88:89], v[84:85], s[0:1], v[104:105]
	v_fma_f64 v[90:91], v[86:87], s[0:1], v[106:107]
	v_fma_f64 v[120:121], v[40:41], 2.0, -v[108:109]
	v_fma_f64 v[122:123], v[42:43], 2.0, -v[110:111]
	;; [unrolled: 4-line block ×4, first 2 shown]
	v_add_f64 v[72:73], v[108:109], -v[62:63]
	v_add_f64 v[74:75], v[110:111], v[60:61]
	v_fma_f64 v[76:77], v[76:77], s[0:1], v[68:69]
	v_fma_f64 v[78:79], v[78:79], s[2:3], v[70:71]
	v_add_f64 v[32:33], v[48:49], -v[38:39]
	v_add_f64 v[34:35], v[50:51], v[36:37]
	v_fma_f64 v[40:41], v[86:87], s[0:1], v[88:89]
	v_fma_f64 v[42:43], v[84:85], s[2:3], v[90:91]
	v_add_f64 v[88:89], v[120:121], -v[52:53]
	v_add_f64 v[90:91], v[122:123], -v[54:55]
	v_fma_f64 v[92:93], v[66:67], s[0:1], v[92:93]
	v_fma_f64 v[94:95], v[64:65], s[2:3], v[94:95]
	v_add_f64 v[36:37], v[116:117], -v[44:45]
	v_add_f64 v[38:39], v[118:119], -v[46:47]
	v_fma_f64 v[68:69], v[108:109], 2.0, -v[72:73]
	v_fma_f64 v[70:71], v[110:111], 2.0, -v[74:75]
	;; [unrolled: 1-line block ×8, first 2 shown]
	s_load_dwordx2 s[2:3], s[4:5], 0x8
	v_fma_f64 v[64:65], v[104:105], 2.0, -v[40:41]
	v_fma_f64 v[66:67], v[106:107], 2.0, -v[42:43]
	v_lshlrev_b16 v96, 3, v167
	v_mov_b32_e32 v97, 4
	v_fma_f64 v[60:61], v[120:121], 2.0, -v[88:89]
	v_fma_f64 v[62:63], v[122:123], 2.0, -v[90:91]
	;; [unrolled: 1-line block ×6, first 2 shown]
	v_add_co_u32 v120, null, v167, 56
	v_lshlrev_b32_sdwa v170, v97, v96 dst_sel:DWORD dst_unused:UNUSED_PAD src0_sel:DWORD src1_sel:WORD_0
	ds_write_b128 v170, v[32:35] offset:96
	ds_write_b128 v170, v[44:47] offset:32
	;; [unrolled: 1-line block ×5, first 2 shown]
	ds_write_b128 v170, v[52:55]
	ds_write_b128 v170, v[64:67] offset:16
	ds_write_b128 v170, v[56:59] offset:112
	v_lshlrev_b32_e32 v169, 7, v120
	s_and_saveexec_b32 s0, vcc_lo
	s_cbranch_execz .LBB0_7
; %bb.6:
	ds_write_b128 v169, v[60:63]
	ds_write_b128 v169, v[80:83] offset:16
	ds_write_b128 v169, v[68:71] offset:32
	;; [unrolled: 1-line block ×7, first 2 shown]
.LBB0_7:
	s_or_b32 exec_lo, exec_lo, s0
	s_waitcnt lgkmcnt(0)
	s_barrier
	buffer_gl0_inv
	ds_read_b128 v[64:67], v165
	ds_read_b128 v[112:115], v165 offset:1280
	ds_read_b128 v[108:111], v165 offset:2560
	;; [unrolled: 1-line block ×6, first 2 shown]
	v_cmp_gt_u16_e64 s0, 24, v167
	s_and_saveexec_b32 s1, s0
	s_cbranch_execz .LBB0_9
; %bb.8:
	ds_read_b128 v[56:59], v165 offset:896
	ds_read_b128 v[60:63], v165 offset:2176
	;; [unrolled: 1-line block ×7, first 2 shown]
.LBB0_9:
	s_or_b32 exec_lo, exec_lo, s1
	v_and_b32_e32 v168, 7, v167
	s_mov_b32 s18, 0x37e14327
	s_mov_b32 s4, 0x36b3c0b5
	;; [unrolled: 1-line block ×4, first 2 shown]
	v_mul_u32_u24_e32 v32, 6, v168
	s_mov_b32 s19, 0x3fe948f6
	s_mov_b32 s5, 0x3fac98ee
	;; [unrolled: 1-line block ×4, first 2 shown]
	v_lshlrev_b32_e32 v44, 4, v32
	s_mov_b32 s16, 0xaaaaaaaa
	s_mov_b32 s22, 0x5476071b
	;; [unrolled: 1-line block ×4, first 2 shown]
	s_clause 0x5
	global_load_dwordx4 v[40:43], v44, s[2:3]
	global_load_dwordx4 v[36:39], v44, s[2:3] offset:16
	global_load_dwordx4 v[32:35], v44, s[2:3] offset:32
	;; [unrolled: 1-line block ×5, first 2 shown]
	s_mov_b32 s23, 0x3fe77f67
	s_mov_b32 s27, 0xbfe77f67
	;; [unrolled: 1-line block ×8, first 2 shown]
	s_waitcnt vmcnt(0) lgkmcnt(0)
	s_barrier
	buffer_gl0_inv
	v_mul_f64 v[121:122], v[114:115], v[42:43]
	v_mul_f64 v[123:124], v[112:113], v[42:43]
	;; [unrolled: 1-line block ×24, first 2 shown]
	v_fma_f64 v[112:113], v[112:113], v[40:41], -v[121:122]
	v_fma_f64 v[114:115], v[114:115], v[40:41], v[123:124]
	v_fma_f64 v[108:109], v[108:109], v[36:37], -v[125:126]
	v_fma_f64 v[110:111], v[110:111], v[36:37], v[127:128]
	;; [unrolled: 2-line block ×12, first 2 shown]
	v_lshrrev_b32_e32 v171, 3, v120
	v_add_f64 v[121:122], v[112:113], v[116:117]
	v_add_f64 v[123:124], v[114:115], v[118:119]
	;; [unrolled: 1-line block ×4, first 2 shown]
	v_add_f64 v[112:113], v[112:113], -v[116:117]
	v_add_f64 v[114:115], v[114:115], -v[118:119]
	v_add_f64 v[116:117], v[100:101], v[96:97]
	v_add_f64 v[118:119], v[102:103], v[98:99]
	v_add_f64 v[96:97], v[96:97], -v[100:101]
	v_add_f64 v[98:99], v[98:99], -v[102:103]
	v_add_f64 v[100:101], v[60:61], v[92:93]
	v_add_f64 v[102:103], v[62:63], v[94:95]
	;; [unrolled: 4-line block ×3, first 2 shown]
	v_add_f64 v[104:105], v[108:109], -v[104:105]
	v_add_f64 v[106:107], v[110:111], -v[106:107]
	;; [unrolled: 1-line block ×4, first 2 shown]
	v_add_f64 v[88:89], v[68:69], v[84:85]
	v_add_f64 v[90:91], v[70:71], v[86:87]
	v_add_f64 v[68:69], v[84:85], -v[68:69]
	v_add_f64 v[70:71], v[86:87], -v[70:71]
	v_add_f64 v[84:85], v[125:126], v[121:122]
	v_add_f64 v[86:87], v[127:128], v[123:124]
	v_add_f64 v[108:109], v[125:126], -v[121:122]
	v_add_f64 v[110:111], v[127:128], -v[123:124]
	;; [unrolled: 1-line block ×6, first 2 shown]
	v_add_f64 v[137:138], v[92:93], v[100:101]
	v_add_f64 v[139:140], v[94:95], v[102:103]
	v_add_f64 v[129:130], v[96:97], v[104:105]
	v_add_f64 v[131:132], v[98:99], v[106:107]
	v_add_f64 v[133:134], v[96:97], -v[104:105]
	v_add_f64 v[135:136], v[98:99], -v[106:107]
	;; [unrolled: 1-line block ×10, first 2 shown]
	v_add_f64 v[145:146], v[68:69], v[80:81]
	v_add_f64 v[147:148], v[70:71], v[82:83]
	v_add_f64 v[149:150], v[68:69], -v[80:81]
	v_add_f64 v[151:152], v[70:71], -v[82:83]
	v_add_f64 v[116:117], v[116:117], v[84:85]
	v_add_f64 v[118:119], v[118:119], v[86:87]
	v_add_f64 v[80:81], v[80:81], -v[60:61]
	v_add_f64 v[82:83], v[82:83], -v[62:63]
	;; [unrolled: 4-line block ×3, first 2 shown]
	v_add_f64 v[68:69], v[60:61], -v[68:69]
	v_add_f64 v[70:71], v[62:63], -v[70:71]
	v_add_f64 v[112:113], v[129:130], v[112:113]
	v_add_f64 v[114:115], v[131:132], v[114:115]
	v_mul_f64 v[121:122], v[121:122], s[18:19]
	v_mul_f64 v[123:124], v[123:124], s[18:19]
	;; [unrolled: 1-line block ×8, first 2 shown]
	v_add_f64 v[145:146], v[145:146], v[60:61]
	v_add_f64 v[147:148], v[147:148], v[62:63]
	v_mul_f64 v[60:61], v[100:101], s[18:19]
	v_mul_f64 v[62:63], v[102:103], s[18:19]
	v_add_f64 v[84:85], v[64:65], v[116:117]
	v_add_f64 v[86:87], v[66:67], v[118:119]
	v_mul_f64 v[64:65], v[92:93], s[4:5]
	v_mul_f64 v[66:67], v[94:95], s[4:5]
	;; [unrolled: 1-line block ×6, first 2 shown]
	v_add_f64 v[56:57], v[56:57], v[88:89]
	v_add_f64 v[58:59], v[58:59], v[90:91]
	v_fma_f64 v[125:126], v[125:126], s[4:5], v[121:122]
	v_fma_f64 v[127:128], v[127:128], s[4:5], v[123:124]
	v_fma_f64 v[129:130], v[108:109], s[22:23], -v[129:130]
	v_fma_f64 v[131:132], v[110:111], s[22:23], -v[131:132]
	;; [unrolled: 1-line block ×4, first 2 shown]
	v_fma_f64 v[121:122], v[96:97], s[28:29], v[133:134]
	v_fma_f64 v[123:124], v[98:99], s[28:29], v[135:136]
	v_fma_f64 v[104:105], v[104:105], s[12:13], -v[133:134]
	v_fma_f64 v[106:107], v[106:107], s[12:13], -v[135:136]
	;; [unrolled: 1-line block ×4, first 2 shown]
	v_fma_f64 v[116:117], v[116:117], s[16:17], v[84:85]
	v_fma_f64 v[118:119], v[118:119], s[16:17], v[86:87]
	;; [unrolled: 1-line block ×4, first 2 shown]
	v_fma_f64 v[64:65], v[141:142], s[22:23], -v[64:65]
	v_fma_f64 v[66:67], v[143:144], s[22:23], -v[66:67]
	;; [unrolled: 1-line block ×4, first 2 shown]
	v_fma_f64 v[60:61], v[68:69], s[28:29], v[100:101]
	v_fma_f64 v[137:138], v[70:71], s[28:29], v[102:103]
	v_fma_f64 v[80:81], v[80:81], s[12:13], -v[100:101]
	v_fma_f64 v[82:83], v[82:83], s[12:13], -v[102:103]
	v_fma_f64 v[88:89], v[88:89], s[16:17], v[56:57]
	v_fma_f64 v[90:91], v[90:91], s[16:17], v[58:59]
	v_fma_f64 v[68:69], v[68:69], s[30:31], -v[149:150]
	v_fma_f64 v[70:71], v[70:71], s[30:31], -v[151:152]
	v_fma_f64 v[100:101], v[112:113], s[20:21], v[121:122]
	v_fma_f64 v[102:103], v[114:115], s[20:21], v[123:124]
	;; [unrolled: 1-line block ×6, first 2 shown]
	v_add_f64 v[125:126], v[125:126], v[116:117]
	v_add_f64 v[127:128], v[127:128], v[118:119]
	;; [unrolled: 1-line block ×6, first 2 shown]
	v_fma_f64 v[62:63], v[145:146], s[20:21], v[60:61]
	v_fma_f64 v[60:61], v[147:148], s[20:21], v[137:138]
	v_fma_f64 v[129:130], v[145:146], s[20:21], v[80:81]
	v_fma_f64 v[131:132], v[147:148], s[20:21], v[82:83]
	v_add_f64 v[137:138], v[64:65], v[88:89]
	v_add_f64 v[139:140], v[66:67], v[90:91]
	v_fma_f64 v[80:81], v[145:146], s[20:21], v[68:69]
	v_fma_f64 v[64:65], v[147:148], s[20:21], v[70:71]
	v_add_f64 v[66:67], v[133:134], v[88:89]
	v_add_f64 v[82:83], v[135:136], v[90:91]
	;; [unrolled: 1-line block ×4, first 2 shown]
	v_lshrrev_b32_e32 v133, 3, v167
	v_add_f64 v[88:89], v[102:103], v[125:126]
	v_add_f64 v[90:91], v[127:128], -v[100:101]
	v_add_f64 v[92:93], v[114:115], v[108:109]
	v_add_f64 v[94:95], v[110:111], -v[112:113]
	v_add_f64 v[96:97], v[116:117], -v[106:107]
	v_add_f64 v[98:99], v[104:105], v[118:119]
	v_add_f64 v[116:117], v[106:107], v[116:117]
	v_add_f64 v[118:119], v[118:119], -v[104:105]
	v_add_f64 v[121:122], v[108:109], -v[114:115]
	v_add_f64 v[123:124], v[112:113], v[110:111]
	v_add_f64 v[125:126], v[125:126], -v[102:103]
	v_add_f64 v[127:128], v[100:101], v[127:128]
	;; [unrolled: 2-line block ×3, first 2 shown]
	v_add_f64 v[104:105], v[131:132], v[137:138]
	v_add_f64 v[106:107], v[139:140], -v[129:130]
	v_add_f64 v[108:109], v[66:67], -v[64:65]
	v_add_f64 v[110:111], v[80:81], v[82:83]
	v_add_f64 v[112:113], v[68:69], -v[60:61]
	v_add_f64 v[114:115], v[62:63], v[70:71]
	v_mul_u32_u24_e32 v129, 56, v133
	v_or_b32_e32 v129, v129, v168
	v_lshlrev_b32_e32 v172, 4, v129
	ds_write_b128 v172, v[84:87]
	ds_write_b128 v172, v[88:91] offset:128
	ds_write_b128 v172, v[92:95] offset:256
	;; [unrolled: 1-line block ×6, first 2 shown]
	s_and_saveexec_b32 s1, s0
	s_cbranch_execz .LBB0_11
; %bb.10:
	v_add_f64 v[62:63], v[70:71], -v[62:63]
	v_add_f64 v[60:61], v[60:61], v[68:69]
	v_add_f64 v[82:83], v[82:83], -v[80:81]
	v_add_f64 v[80:81], v[64:65], v[66:67]
	v_mul_u32_u24_e32 v64, 56, v171
	v_or_b32_e32 v64, v64, v168
	v_lshlrev_b32_e32 v64, 4, v64
	ds_write_b128 v64, v[56:59]
	ds_write_b128 v64, v[100:103] offset:384
	ds_write_b128 v64, v[104:107] offset:512
	;; [unrolled: 1-line block ×6, first 2 shown]
.LBB0_11:
	s_or_b32 exec_lo, exec_lo, s1
	v_lshlrev_b32_e32 v80, 6, v167
	s_waitcnt lgkmcnt(0)
	s_barrier
	buffer_gl0_inv
	s_mov_b32 s12, 0x134454ff
	s_clause 0x3
	global_load_dwordx4 v[68:71], v80, s[2:3] offset:768
	global_load_dwordx4 v[64:67], v80, s[2:3] offset:784
	;; [unrolled: 1-line block ×4, first 2 shown]
	ds_read_b128 v[81:84], v165 offset:1792
	ds_read_b128 v[85:88], v165 offset:3584
	;; [unrolled: 1-line block ×8, first 2 shown]
	ds_read_b128 v[132:135], v165
	ds_read_b128 v[136:139], v165 offset:896
	s_mov_b32 s13, 0x3fee6f0e
	s_mov_b32 s21, 0xbfee6f0e
	;; [unrolled: 1-line block ×9, first 2 shown]
	v_add_co_u32 v80, s1, s2, v80
	v_mul_hi_i32_i24_e32 v99, 0xffffffd0, v167
	s_waitcnt vmcnt(0) lgkmcnt(0)
	s_barrier
	buffer_gl0_inv
	v_mul_f64 v[97:98], v[83:84], v[70:71]
	v_mul_f64 v[142:143], v[87:88], v[66:67]
	;; [unrolled: 1-line block ×16, first 2 shown]
	v_fma_f64 v[81:82], v[81:82], v[68:69], -v[97:98]
	v_fma_f64 v[85:86], v[85:86], v[64:65], -v[142:143]
	v_fma_f64 v[87:88], v[87:88], v[64:65], v[144:145]
	v_fma_f64 v[89:90], v[89:90], v[60:61], -v[146:147]
	v_fma_f64 v[91:92], v[91:92], v[60:61], v[150:151]
	v_fma_f64 v[83:84], v[83:84], v[68:69], v[140:141]
	;; [unrolled: 1-line block ×3, first 2 shown]
	v_fma_f64 v[93:94], v[93:94], v[56:57], -v[152:153]
	v_fma_f64 v[97:98], v[116:117], v[68:69], -v[154:155]
	v_fma_f64 v[116:117], v[118:119], v[68:69], v[173:174]
	v_fma_f64 v[118:119], v[120:121], v[64:65], -v[175:176]
	v_fma_f64 v[120:121], v[122:123], v[64:65], v[177:178]
	;; [unrolled: 2-line block ×4, first 2 shown]
	v_add_f64 v[130:131], v[132:133], v[81:82]
	v_add_f64 v[146:147], v[81:82], -v[85:86]
	v_add_f64 v[152:153], v[85:86], -v[81:82]
	v_add_f64 v[140:141], v[85:86], v[89:90]
	v_add_f64 v[175:176], v[87:88], v[91:92]
	;; [unrolled: 1-line block ×5, first 2 shown]
	v_add_f64 v[148:149], v[93:94], -v[89:90]
	v_add_f64 v[142:143], v[83:84], -v[95:96]
	v_add_f64 v[154:155], v[89:90], -v[93:94]
	v_add_f64 v[179:180], v[83:84], -v[87:88]
	v_add_f64 v[187:188], v[118:119], v[122:123]
	v_add_f64 v[195:196], v[120:121], v[124:125]
	;; [unrolled: 1-line block ×4, first 2 shown]
	v_add_f64 v[83:84], v[87:88], -v[83:84]
	v_add_f64 v[185:186], v[91:92], -v[95:96]
	v_add_f64 v[189:190], v[136:137], v[97:98]
	v_add_f64 v[209:210], v[138:139], v[116:117]
	v_add_f64 v[81:82], v[81:82], -v[93:94]
	v_add_f64 v[144:145], v[87:88], -v[91:92]
	;; [unrolled: 1-line block ×5, first 2 shown]
	v_fma_f64 v[140:141], v[140:141], -0.5, v[132:133]
	v_fma_f64 v[175:176], v[175:176], -0.5, v[134:135]
	v_add_f64 v[201:202], v[97:98], -v[118:119]
	v_fma_f64 v[134:135], v[183:184], -0.5, v[134:135]
	v_fma_f64 v[132:133], v[150:151], -0.5, v[132:133]
	v_add_f64 v[205:206], v[118:119], -v[97:98]
	v_add_f64 v[97:98], v[97:98], -v[126:127]
	v_add_f64 v[85:86], v[130:131], v[85:86]
	v_add_f64 v[197:198], v[120:121], -v[124:125]
	v_fma_f64 v[187:188], v[187:188], -0.5, v[136:137]
	v_add_f64 v[203:204], v[126:127], -v[122:123]
	v_fma_f64 v[130:131], v[191:192], -0.5, v[136:137]
	v_add_f64 v[136:137], v[146:147], v[148:149]
	v_fma_f64 v[146:147], v[195:196], -0.5, v[138:139]
	v_add_f64 v[211:212], v[118:119], -v[122:123]
	v_fma_f64 v[138:139], v[199:200], -0.5, v[138:139]
	v_add_f64 v[87:88], v[173:174], v[87:88]
	v_add_f64 v[148:149], v[152:153], v[154:155]
	;; [unrolled: 1-line block ×5, first 2 shown]
	v_add_f64 v[213:214], v[116:117], -v[120:121]
	v_add_f64 v[116:117], v[120:121], -v[116:117]
	;; [unrolled: 1-line block ×3, first 2 shown]
	v_fma_f64 v[120:121], v[142:143], s[12:13], v[140:141]
	v_fma_f64 v[185:186], v[81:82], s[20:21], v[175:176]
	v_add_f64 v[152:153], v[179:180], v[181:182]
	v_fma_f64 v[140:141], v[142:143], s[20:21], v[140:141]
	v_fma_f64 v[181:182], v[144:145], s[20:21], v[132:133]
	;; [unrolled: 1-line block ×6, first 2 shown]
	v_add_f64 v[150:151], v[128:129], -v[124:125]
	v_fma_f64 v[191:192], v[193:194], s[12:13], v[187:188]
	v_fma_f64 v[199:200], v[97:98], s[20:21], v[146:147]
	v_add_f64 v[207:208], v[122:123], -v[126:127]
	v_add_f64 v[173:174], v[201:202], v[203:204]
	v_fma_f64 v[195:196], v[197:198], s[20:21], v[130:131]
	v_fma_f64 v[201:202], v[211:212], s[12:13], v[138:139]
	;; [unrolled: 1-line block ×6, first 2 shown]
	v_add_f64 v[85:86], v[85:86], v[89:90]
	v_add_f64 v[87:88], v[87:88], v[91:92]
	;; [unrolled: 1-line block ×5, first 2 shown]
	v_fma_f64 v[116:117], v[144:145], s[16:17], v[120:121]
	v_fma_f64 v[124:125], v[177:178], s[18:19], v[185:186]
	v_fma_f64 v[118:119], v[144:145], s[18:19], v[140:141]
	v_fma_f64 v[120:121], v[142:143], s[16:17], v[181:182]
	v_fma_f64 v[140:141], v[81:82], s[18:19], v[189:190]
	v_fma_f64 v[122:123], v[142:143], s[18:19], v[132:133]
	v_fma_f64 v[134:135], v[81:82], s[16:17], v[134:135]
	v_fma_f64 v[132:133], v[177:178], s[16:17], v[175:176]
	v_add_f64 v[150:151], v[213:214], v[150:151]
	v_fma_f64 v[142:143], v[197:198], s[16:17], v[191:192]
	v_fma_f64 v[177:178], v[211:212], s[18:19], v[199:200]
	v_add_f64 v[179:180], v[205:206], v[207:208]
	v_fma_f64 v[175:176], v[193:194], s[16:17], v[195:196]
	v_fma_f64 v[181:182], v[97:98], s[18:19], v[201:202]
	;; [unrolled: 1-line block ×6, first 2 shown]
	v_add_f64 v[81:82], v[85:86], v[93:94]
	v_add_f64 v[83:84], v[87:88], v[95:96]
	;; [unrolled: 1-line block ×4, first 2 shown]
	v_fma_f64 v[89:90], v[136:137], s[4:5], v[116:117]
	v_fma_f64 v[91:92], v[152:153], s[4:5], v[124:125]
	v_fma_f64 v[93:94], v[136:137], s[4:5], v[118:119]
	v_fma_f64 v[116:117], v[148:149], s[4:5], v[120:121]
	v_fma_f64 v[118:119], v[154:155], s[4:5], v[140:141]
	v_fma_f64 v[120:121], v[148:149], s[4:5], v[122:123]
	v_fma_f64 v[122:123], v[154:155], s[4:5], v[134:135]
	v_fma_f64 v[95:96], v[152:153], s[4:5], v[132:133]
	v_mul_i32_i24_e32 v185, 0xffffffd0, v167
	v_fma_f64 v[124:125], v[173:174], s[4:5], v[142:143]
	v_fma_f64 v[126:127], v[150:151], s[4:5], v[177:178]
	v_or_b32_e32 v186, 0x1800, v165
	v_fma_f64 v[132:133], v[179:180], s[4:5], v[175:176]
	v_fma_f64 v[134:135], v[183:184], s[4:5], v[181:182]
	;; [unrolled: 1-line block ×4, first 2 shown]
	v_add_co_ci_u32_e64 v97, null, s3, 0, s1
	v_fma_f64 v[128:129], v[173:174], s[4:5], v[144:145]
	v_fma_f64 v[130:131], v[150:151], s[4:5], v[146:147]
	v_add_co_u32 v140, s1, v80, v185
	v_add_co_ci_u32_e64 v99, s1, v97, v99, s1
	ds_write_b128 v165, v[81:84]
	ds_write_b128 v165, v[85:88] offset:4480
	ds_write_b128 v165, v[89:92] offset:896
	;; [unrolled: 1-line block ×9, first 2 shown]
	v_add_co_u32 v97, s1, 0x1000, v140
	v_add_co_ci_u32_e64 v98, s1, 0, v99, s1
	v_add_co_u32 v116, s1, 0x1800, v140
	s_waitcnt lgkmcnt(0)
	s_barrier
	buffer_gl0_inv
	global_load_dwordx4 v[80:83], v[97:98], off offset:256
	v_add_co_ci_u32_e64 v117, s1, 0, v99, s1
	s_clause 0x3
	global_load_dwordx4 v[88:91], v[97:98], off offset:1152
	global_load_dwordx4 v[84:87], v186, s[2:3]
	global_load_dwordx4 v[92:95], v[116:117], off offset:896
	global_load_dwordx4 v[96:99], v[116:117], off offset:1792
	ds_read_b128 v[116:119], v165 offset:4480
	ds_read_b128 v[120:123], v165 offset:5376
	;; [unrolled: 1-line block ×6, first 2 shown]
	ds_read_b128 v[140:143], v165
	ds_read_b128 v[144:147], v165 offset:896
	ds_read_b128 v[148:151], v165 offset:1792
	;; [unrolled: 1-line block ×3, first 2 shown]
	s_add_u32 s2, s6, 0x2300
	s_addc_u32 s3, s7, 0
	s_waitcnt vmcnt(4) lgkmcnt(9)
	v_mul_f64 v[173:174], v[118:119], v[82:83]
	v_mul_f64 v[175:176], v[116:117], v[82:83]
	s_waitcnt vmcnt(3) lgkmcnt(8)
	v_mul_f64 v[177:178], v[122:123], v[90:91]
	v_mul_f64 v[179:180], v[120:121], v[90:91]
	;; [unrolled: 3-line block ×5, first 2 shown]
	v_fma_f64 v[116:117], v[116:117], v[80:81], -v[173:174]
	v_fma_f64 v[118:119], v[118:119], v[80:81], v[175:176]
	v_fma_f64 v[120:121], v[120:121], v[88:89], -v[177:178]
	v_fma_f64 v[122:123], v[122:123], v[88:89], v[179:180]
	;; [unrolled: 2-line block ×5, first 2 shown]
	s_waitcnt lgkmcnt(3)
	v_add_f64 v[132:133], v[140:141], -v[116:117]
	v_add_f64 v[134:135], v[142:143], -v[118:119]
	s_waitcnt lgkmcnt(2)
	v_add_f64 v[173:174], v[144:145], -v[120:121]
	v_add_f64 v[175:176], v[146:147], -v[122:123]
	;; [unrolled: 3-line block ×4, first 2 shown]
	v_add_f64 v[116:117], v[136:137], -v[185:186]
	v_add_f64 v[118:119], v[138:139], -v[187:188]
	v_add_co_u32 v124, s1, s2, v165
	v_add_co_ci_u32_e64 v125, null, s3, 0, s1
	v_add_co_u32 v128, s1, 0x800, v124
	v_add_co_ci_u32_e64 v129, s1, 0, v125, s1
	v_add_co_u32 v130, s1, 0x1000, v124
	v_add_co_ci_u32_e64 v131, s1, 0, v125, s1
	v_fma_f64 v[140:141], v[140:141], 2.0, -v[132:133]
	v_fma_f64 v[142:143], v[142:143], 2.0, -v[134:135]
	v_fma_f64 v[144:145], v[144:145], 2.0, -v[173:174]
	v_fma_f64 v[146:147], v[146:147], 2.0, -v[175:176]
	v_fma_f64 v[148:149], v[148:149], 2.0, -v[177:178]
	v_fma_f64 v[150:151], v[150:151], 2.0, -v[179:180]
	v_fma_f64 v[152:153], v[152:153], 2.0, -v[181:182]
	v_fma_f64 v[154:155], v[154:155], 2.0, -v[183:184]
	v_fma_f64 v[120:121], v[136:137], 2.0, -v[116:117]
	v_fma_f64 v[122:123], v[138:139], 2.0, -v[118:119]
	v_add_co_u32 v126, s1, 0x1800, v124
	ds_write_b128 v165, v[132:135] offset:4480
	ds_write_b128 v165, v[173:176] offset:5376
	;; [unrolled: 1-line block ×5, first 2 shown]
	ds_write_b128 v165, v[140:143]
	ds_write_b128 v165, v[144:147] offset:896
	ds_write_b128 v165, v[148:151] offset:1792
	;; [unrolled: 1-line block ×4, first 2 shown]
	s_waitcnt lgkmcnt(0)
	s_barrier
	buffer_gl0_inv
	s_clause 0x3
	global_load_dwordx4 v[132:135], v165, s[2:3]
	global_load_dwordx4 v[136:139], v165, s[2:3] offset:1120
	global_load_dwordx4 v[140:143], v[128:129], off offset:192
	global_load_dwordx4 v[144:147], v[128:129], off offset:1312
	v_add_co_ci_u32_e64 v127, s1, 0, v125, s1
	s_clause 0x3
	global_load_dwordx4 v[148:151], v[130:131], off offset:384
	global_load_dwordx4 v[152:155], v[130:131], off offset:1504
	;; [unrolled: 1-line block ×4, first 2 shown]
	ds_read_b128 v[181:184], v165
	ds_read_b128 v[185:188], v165 offset:1120
	ds_read_b128 v[189:192], v165 offset:2240
	;; [unrolled: 1-line block ×7, first 2 shown]
	s_waitcnt vmcnt(7) lgkmcnt(7)
	v_mul_f64 v[213:214], v[183:184], v[134:135]
	v_mul_f64 v[134:135], v[181:182], v[134:135]
	s_waitcnt vmcnt(6) lgkmcnt(6)
	v_mul_f64 v[215:216], v[187:188], v[138:139]
	v_mul_f64 v[138:139], v[185:186], v[138:139]
	;; [unrolled: 3-line block ×8, first 2 shown]
	v_fma_f64 v[179:180], v[181:182], v[132:133], -v[213:214]
	v_fma_f64 v[181:182], v[183:184], v[132:133], v[134:135]
	v_fma_f64 v[132:133], v[185:186], v[136:137], -v[215:216]
	v_fma_f64 v[134:135], v[187:188], v[136:137], v[138:139]
	;; [unrolled: 2-line block ×8, first 2 shown]
	ds_write_b128 v165, v[179:182]
	ds_write_b128 v165, v[132:135] offset:1120
	ds_write_b128 v165, v[136:139] offset:2240
	;; [unrolled: 1-line block ×7, first 2 shown]
	s_and_saveexec_b32 s4, vcc_lo
	s_cbranch_execz .LBB0_13
; %bb.12:
	v_add_co_u32 v152, s1, 0x2000, v124
	s_clause 0x3
	global_load_dwordx4 v[132:135], v[124:125], off offset:896
	global_load_dwordx4 v[136:139], v[124:125], off offset:2016
	;; [unrolled: 1-line block ×4, first 2 shown]
	v_lshl_or_b32 v148, v167, 4, 0x1500
	global_load_dwordx4 v[144:147], v[126:127], off offset:352
	v_add_co_ci_u32_e64 v153, s1, 0, v125, s1
	s_clause 0x2
	global_load_dwordx4 v[124:127], v[126:127], off offset:1472
	global_load_dwordx4 v[148:151], v148, s[2:3]
	global_load_dwordx4 v[152:155], v[152:153], off offset:544
	ds_read_b128 v[173:176], v165 offset:896
	ds_read_b128 v[177:180], v165 offset:2016
	;; [unrolled: 1-line block ×8, first 2 shown]
	s_waitcnt vmcnt(7) lgkmcnt(7)
	v_mul_f64 v[205:206], v[175:176], v[134:135]
	v_mul_f64 v[134:135], v[173:174], v[134:135]
	s_waitcnt vmcnt(6) lgkmcnt(6)
	v_mul_f64 v[207:208], v[179:180], v[138:139]
	v_mul_f64 v[138:139], v[177:178], v[138:139]
	;; [unrolled: 3-line block ×8, first 2 shown]
	v_fma_f64 v[130:131], v[173:174], v[132:133], -v[205:206]
	v_fma_f64 v[132:133], v[175:176], v[132:133], v[134:135]
	v_fma_f64 v[134:135], v[177:178], v[136:137], -v[207:208]
	v_fma_f64 v[136:137], v[179:180], v[136:137], v[138:139]
	;; [unrolled: 2-line block ×8, first 2 shown]
	ds_write_b128 v165, v[130:133] offset:896
	ds_write_b128 v165, v[134:137] offset:2016
	;; [unrolled: 1-line block ×8, first 2 shown]
.LBB0_13:
	s_or_b32 exec_lo, exec_lo, s4
	s_waitcnt lgkmcnt(0)
	s_barrier
	buffer_gl0_inv
	ds_read_b128 v[132:135], v165
	ds_read_b128 v[124:127], v165 offset:1120
	ds_read_b128 v[136:139], v165 offset:2240
	;; [unrolled: 1-line block ×7, first 2 shown]
	s_and_saveexec_b32 s1, vcc_lo
	s_cbranch_execz .LBB0_15
; %bb.14:
	ds_read_b128 v[120:123], v165 offset:896
	ds_read_b128 v[116:119], v165 offset:2016
	;; [unrolled: 1-line block ×8, first 2 shown]
.LBB0_15:
	s_or_b32 exec_lo, exec_lo, s1
	s_waitcnt lgkmcnt(3)
	v_add_f64 v[152:153], v[132:133], -v[152:153]
	v_add_f64 v[154:155], v[134:135], -v[154:155]
	s_waitcnt lgkmcnt(1)
	v_add_f64 v[148:149], v[136:137], -v[148:149]
	v_add_f64 v[150:151], v[138:139], -v[150:151]
	;; [unrolled: 1-line block ×4, first 2 shown]
	s_waitcnt lgkmcnt(0)
	v_add_f64 v[140:141], v[128:129], -v[140:141]
	v_add_f64 v[142:143], v[130:131], -v[142:143]
	v_add_f64 v[108:109], v[120:121], -v[108:109]
	v_add_f64 v[110:111], v[122:123], -v[110:111]
	v_add_f64 v[72:73], v[100:101], -v[72:73]
	v_add_f64 v[74:75], v[102:103], -v[74:75]
	v_add_f64 v[112:113], v[116:117], -v[112:113]
	v_add_f64 v[114:115], v[118:119], -v[114:115]
	v_add_f64 v[76:77], v[104:105], -v[76:77]
	v_add_f64 v[78:79], v[106:107], -v[78:79]
	s_mov_b32 s2, 0x667f3bcd
	s_mov_b32 s3, 0xbfe6a09e
	;; [unrolled: 1-line block ×4, first 2 shown]
	s_barrier
	v_fma_f64 v[132:133], v[132:133], 2.0, -v[152:153]
	v_fma_f64 v[134:135], v[134:135], 2.0, -v[154:155]
	;; [unrolled: 1-line block ×8, first 2 shown]
	v_add_f64 v[142:143], v[144:145], v[142:143]
	v_add_f64 v[140:141], v[146:147], -v[140:141]
	v_fma_f64 v[120:121], v[120:121], 2.0, -v[108:109]
	v_fma_f64 v[122:123], v[122:123], 2.0, -v[110:111]
	;; [unrolled: 1-line block ×6, first 2 shown]
	v_add_f64 v[173:174], v[74:75], v[108:109]
	v_add_f64 v[175:176], v[110:111], -v[72:73]
	v_fma_f64 v[72:73], v[104:105], 2.0, -v[76:77]
	v_fma_f64 v[74:75], v[106:107], 2.0, -v[78:79]
	v_add_f64 v[78:79], v[78:79], v[112:113]
	v_add_f64 v[76:77], v[114:115], -v[76:77]
	v_add_f64 v[150:151], v[152:153], v[150:151]
	v_add_f64 v[148:149], v[154:155], -v[148:149]
	v_add_f64 v[104:105], v[132:133], -v[136:137]
	v_add_f64 v[106:107], v[134:135], -v[138:139]
	buffer_gl0_inv
	v_add_f64 v[136:137], v[124:125], -v[128:129]
	v_add_f64 v[128:129], v[126:127], -v[130:131]
	v_fma_f64 v[138:139], v[144:145], 2.0, -v[142:143]
	v_fma_f64 v[144:145], v[146:147], 2.0, -v[140:141]
	v_add_f64 v[100:101], v[120:121], -v[100:101]
	v_add_f64 v[102:103], v[122:123], -v[102:103]
	v_fma_f64 v[177:178], v[108:109], 2.0, -v[173:174]
	v_fma_f64 v[179:180], v[110:111], 2.0, -v[175:176]
	;; [unrolled: 4-line block ×3, first 2 shown]
	v_fma_f64 v[152:153], v[152:153], 2.0, -v[150:151]
	v_fma_f64 v[154:155], v[154:155], 2.0, -v[148:149]
	v_fma_f64 v[112:113], v[78:79], s[4:5], v[173:174]
	v_fma_f64 v[183:184], v[132:133], 2.0, -v[104:105]
	v_fma_f64 v[132:133], v[76:77], s[4:5], v[175:176]
	v_fma_f64 v[72:73], v[142:143], s[4:5], v[150:151]
	v_fma_f64 v[114:115], v[124:125], 2.0, -v[136:137]
	v_fma_f64 v[74:75], v[140:141], s[4:5], v[148:149]
	v_fma_f64 v[185:186], v[134:135], 2.0, -v[106:107]
	v_fma_f64 v[134:135], v[126:127], 2.0, -v[128:129]
	v_add_f64 v[128:129], v[104:105], v[128:129]
	v_add_f64 v[130:131], v[106:107], -v[136:137]
	v_fma_f64 v[191:192], v[120:121], 2.0, -v[100:101]
	v_fma_f64 v[193:194], v[122:123], 2.0, -v[102:103]
	;; [unrolled: 1-line block ×4, first 2 shown]
	v_fma_f64 v[195:196], v[146:147], s[2:3], v[177:178]
	v_fma_f64 v[197:198], v[181:182], s[2:3], v[179:180]
	;; [unrolled: 1-line block ×4, first 2 shown]
	v_add_f64 v[124:125], v[100:101], v[110:111]
	v_add_f64 v[126:127], v[102:103], -v[108:109]
	v_fma_f64 v[120:121], v[76:77], s[4:5], v[112:113]
	v_fma_f64 v[122:123], v[78:79], s[2:3], v[132:133]
	v_add_f64 v[132:133], v[183:184], -v[114:115]
	v_fma_f64 v[72:73], v[140:141], s[4:5], v[72:73]
	v_fma_f64 v[74:75], v[142:143], s[2:3], v[74:75]
	v_add_f64 v[134:135], v[185:186], -v[134:135]
	v_fma_f64 v[140:141], v[104:105], 2.0, -v[128:129]
	v_fma_f64 v[142:143], v[106:107], 2.0, -v[130:131]
	v_add_f64 v[112:113], v[191:192], -v[116:117]
	v_add_f64 v[114:115], v[193:194], -v[118:119]
	v_fma_f64 v[116:117], v[181:182], s[4:5], v[195:196]
	v_fma_f64 v[118:119], v[146:147], s[2:3], v[197:198]
	;; [unrolled: 1-line block ×4, first 2 shown]
	v_fma_f64 v[100:101], v[100:101], 2.0, -v[124:125]
	v_fma_f64 v[102:103], v[102:103], 2.0, -v[126:127]
	;; [unrolled: 1-line block ×14, first 2 shown]
	ds_write_b128 v170, v[128:131] offset:96
	ds_write_b128 v170, v[140:143] offset:32
	;; [unrolled: 1-line block ×5, first 2 shown]
	ds_write_b128 v170, v[148:151]
	ds_write_b128 v170, v[152:155] offset:16
	ds_write_b128 v170, v[72:75] offset:112
	s_and_saveexec_b32 s1, vcc_lo
	s_cbranch_execz .LBB0_17
; %bb.16:
	ds_write_b128 v169, v[76:79]
	ds_write_b128 v169, v[104:107] offset:16
	ds_write_b128 v169, v[100:103] offset:32
	ds_write_b128 v169, v[108:111] offset:48
	ds_write_b128 v169, v[112:115] offset:64
	ds_write_b128 v169, v[116:119] offset:80
	ds_write_b128 v169, v[124:127] offset:96
	ds_write_b128 v169, v[120:123] offset:112
.LBB0_17:
	s_or_b32 exec_lo, exec_lo, s1
	s_waitcnt lgkmcnt(0)
	s_barrier
	buffer_gl0_inv
	ds_read_b128 v[120:123], v165
	ds_read_b128 v[140:143], v165 offset:1280
	ds_read_b128 v[136:139], v165 offset:2560
	;; [unrolled: 1-line block ×6, first 2 shown]
	s_and_saveexec_b32 s1, s0
	s_cbranch_execz .LBB0_19
; %bb.18:
	ds_read_b128 v[72:75], v165 offset:896
	ds_read_b128 v[76:79], v165 offset:2176
	ds_read_b128 v[104:107], v165 offset:3456
	ds_read_b128 v[100:103], v165 offset:4736
	ds_read_b128 v[108:111], v165 offset:6016
	ds_read_b128 v[112:115], v165 offset:7296
	ds_read_b128 v[116:119], v165 offset:8576
.LBB0_19:
	s_or_b32 exec_lo, exec_lo, s1
	s_waitcnt lgkmcnt(5)
	v_mul_f64 v[148:149], v[42:43], v[142:143]
	v_mul_f64 v[150:151], v[42:43], v[140:141]
	s_waitcnt lgkmcnt(4)
	v_mul_f64 v[152:153], v[38:39], v[138:139]
	v_mul_f64 v[154:155], v[38:39], v[136:137]
	;; [unrolled: 3-line block ×3, first 2 shown]
	v_mul_f64 v[175:176], v[54:55], v[134:135]
	v_mul_f64 v[177:178], v[54:55], v[132:133]
	;; [unrolled: 1-line block ×6, first 2 shown]
	s_mov_b32 s2, 0x37e14327
	s_mov_b32 s18, 0xe976ee23
	;; [unrolled: 1-line block ×10, first 2 shown]
	v_fma_f64 v[140:141], v[40:41], v[140:141], v[148:149]
	v_fma_f64 v[142:143], v[40:41], v[142:143], -v[150:151]
	v_fma_f64 v[136:137], v[36:37], v[136:137], v[152:153]
	v_fma_f64 v[138:139], v[36:37], v[138:139], -v[154:155]
	;; [unrolled: 2-line block ×6, first 2 shown]
	s_mov_b32 s13, 0xbff2aaaa
	s_mov_b32 s20, 0x5476071b
	;; [unrolled: 1-line block ×10, first 2 shown]
	s_barrier
	buffer_gl0_inv
	v_add_f64 v[148:149], v[140:141], v[144:145]
	v_add_f64 v[150:151], v[142:143], v[146:147]
	;; [unrolled: 1-line block ×4, first 2 shown]
	v_add_f64 v[132:133], v[136:137], -v[132:133]
	v_add_f64 v[134:135], v[138:139], -v[134:135]
	v_add_f64 v[136:137], v[128:129], v[124:125]
	v_add_f64 v[138:139], v[130:131], v[126:127]
	v_add_f64 v[124:125], v[124:125], -v[128:129]
	v_add_f64 v[126:127], v[126:127], -v[130:131]
	;; [unrolled: 1-line block ×4, first 2 shown]
	v_add_f64 v[140:141], v[152:153], v[148:149]
	v_add_f64 v[142:143], v[154:155], v[150:151]
	v_add_f64 v[144:145], v[148:149], -v[136:137]
	v_add_f64 v[146:147], v[150:151], -v[138:139]
	;; [unrolled: 1-line block ×6, first 2 shown]
	v_add_f64 v[132:133], v[124:125], v[132:133]
	v_add_f64 v[134:135], v[126:127], v[134:135]
	v_add_f64 v[124:125], v[128:129], -v[124:125]
	v_add_f64 v[126:127], v[130:131], -v[126:127]
	;; [unrolled: 1-line block ×4, first 2 shown]
	v_add_f64 v[140:141], v[136:137], v[140:141]
	v_add_f64 v[142:143], v[138:139], v[142:143]
	v_add_f64 v[136:137], v[136:137], -v[152:153]
	v_add_f64 v[138:139], v[138:139], -v[154:155]
	v_mul_f64 v[144:145], v[144:145], s[2:3]
	v_mul_f64 v[146:147], v[146:147], s[2:3]
	;; [unrolled: 1-line block ×6, first 2 shown]
	v_add_f64 v[128:129], v[132:133], v[128:129]
	v_add_f64 v[130:131], v[134:135], v[130:131]
	;; [unrolled: 1-line block ×4, first 2 shown]
	v_mul_f64 v[152:153], v[136:137], s[16:17]
	v_mul_f64 v[154:155], v[138:139], s[16:17]
	v_fma_f64 v[132:133], v[136:137], s[16:17], v[144:145]
	v_fma_f64 v[134:135], v[138:139], s[16:17], v[146:147]
	;; [unrolled: 1-line block ×4, first 2 shown]
	v_fma_f64 v[169:170], v[175:176], s[4:5], -v[169:170]
	v_fma_f64 v[173:174], v[177:178], s[4:5], -v[173:174]
	;; [unrolled: 1-line block ×6, first 2 shown]
	v_fma_f64 v[140:141], v[140:141], s[12:13], v[120:121]
	v_fma_f64 v[142:143], v[142:143], s[12:13], v[122:123]
	v_fma_f64 v[148:149], v[148:149], s[20:21], -v[152:153]
	v_fma_f64 v[150:151], v[150:151], s[20:21], -v[154:155]
	v_fma_f64 v[152:153], v[128:129], s[28:29], v[136:137]
	v_fma_f64 v[154:155], v[130:131], s[28:29], v[138:139]
	;; [unrolled: 1-line block ×6, first 2 shown]
	v_add_f64 v[175:176], v[132:133], v[140:141]
	v_add_f64 v[177:178], v[134:135], v[142:143]
	;; [unrolled: 1-line block ×7, first 2 shown]
	v_add_f64 v[126:127], v[177:178], -v[152:153]
	v_add_f64 v[128:129], v[173:174], v[144:145]
	v_add_f64 v[130:131], v[146:147], -v[169:170]
	v_add_f64 v[132:133], v[140:141], -v[136:137]
	v_add_f64 v[134:135], v[138:139], v[142:143]
	v_add_f64 v[136:137], v[136:137], v[140:141]
	v_add_f64 v[138:139], v[142:143], -v[138:139]
	v_add_f64 v[140:141], v[144:145], -v[173:174]
	v_add_f64 v[142:143], v[169:170], v[146:147]
	v_add_f64 v[144:145], v[175:176], -v[154:155]
	v_add_f64 v[146:147], v[152:153], v[177:178]
	ds_write_b128 v172, v[120:123]
	ds_write_b128 v172, v[124:127] offset:128
	ds_write_b128 v172, v[128:131] offset:256
	;; [unrolled: 1-line block ×6, first 2 shown]
	s_and_saveexec_b32 s1, s0
	s_cbranch_execz .LBB0_21
; %bb.20:
	v_mul_f64 v[120:121], v[50:51], v[116:117]
	v_mul_f64 v[122:123], v[42:43], v[76:77]
	;; [unrolled: 1-line block ×12, first 2 shown]
	v_fma_f64 v[118:119], v[48:49], v[118:119], -v[120:121]
	v_fma_f64 v[78:79], v[40:41], v[78:79], -v[122:123]
	;; [unrolled: 1-line block ×4, first 2 shown]
	v_fma_f64 v[40:41], v[40:41], v[76:77], v[42:43]
	v_fma_f64 v[42:43], v[48:49], v[116:117], v[50:51]
	;; [unrolled: 1-line block ×6, first 2 shown]
	v_fma_f64 v[32:33], v[32:33], v[102:103], -v[34:35]
	v_fma_f64 v[34:35], v[44:45], v[110:111], -v[46:47]
	v_add_f64 v[44:45], v[78:79], v[118:119]
	v_add_f64 v[46:47], v[114:115], v[106:107]
	;; [unrolled: 1-line block ×3, first 2 shown]
	v_add_f64 v[40:41], v[40:41], -v[42:43]
	v_add_f64 v[54:55], v[38:39], v[36:37]
	v_add_f64 v[36:37], v[36:37], -v[38:39]
	v_add_f64 v[76:77], v[48:49], -v[50:51]
	v_add_f64 v[48:49], v[50:51], v[48:49]
	v_add_f64 v[38:39], v[32:33], v[34:35]
	v_add_f64 v[32:33], v[34:35], -v[32:33]
	v_add_f64 v[34:35], v[106:107], -v[114:115]
	;; [unrolled: 1-line block ×3, first 2 shown]
	v_add_f64 v[42:43], v[44:45], v[46:47]
	v_add_f64 v[78:79], v[52:53], v[54:55]
	v_add_f64 v[106:107], v[36:37], -v[40:41]
	v_add_f64 v[100:101], v[76:77], -v[36:37]
	;; [unrolled: 1-line block ×7, first 2 shown]
	v_add_f64 v[36:37], v[76:77], v[36:37]
	v_add_f64 v[76:77], v[32:33], v[34:35]
	;; [unrolled: 1-line block ×3, first 2 shown]
	v_add_f64 v[38:39], v[44:45], -v[38:39]
	v_add_f64 v[44:45], v[46:47], -v[44:45]
	v_add_f64 v[78:79], v[48:49], v[78:79]
	v_add_f64 v[48:49], v[52:53], -v[48:49]
	v_mul_f64 v[100:101], v[100:101], s[18:19]
	v_mul_f64 v[104:105], v[104:105], s[16:17]
	;; [unrolled: 1-line block ×6, first 2 shown]
	v_add_f64 v[52:53], v[54:55], -v[52:53]
	v_add_f64 v[36:37], v[40:41], v[36:37]
	v_add_f64 v[40:41], v[50:51], v[76:77]
	;; [unrolled: 1-line block ×3, first 2 shown]
	v_mul_f64 v[46:47], v[38:39], s[2:3]
	v_add_f64 v[74:75], v[50:51], -v[32:33]
	v_add_f64 v[32:33], v[72:73], v[78:79]
	v_mul_f64 v[54:55], v[48:49], s[2:3]
	v_fma_f64 v[50:51], v[112:113], s[24:25], v[100:101]
	v_fma_f64 v[48:49], v[48:49], s[2:3], v[104:105]
	;; [unrolled: 1-line block ×3, first 2 shown]
	v_fma_f64 v[72:73], v[112:113], s[26:27], -v[114:115]
	v_fma_f64 v[76:77], v[106:107], s[4:5], -v[100:101]
	v_fma_f64 v[42:43], v[42:43], s[12:13], v[34:35]
	v_fma_f64 v[46:47], v[44:45], s[22:23], -v[46:47]
	v_fma_f64 v[44:45], v[44:45], s[20:21], -v[102:103]
	v_fma_f64 v[100:101], v[74:75], s[24:25], v[108:109]
	;; [unrolled: 3-line block ×4, first 2 shown]
	v_fma_f64 v[72:73], v[36:37], s[28:29], v[72:73]
	v_fma_f64 v[36:37], v[36:37], s[28:29], v[76:77]
	v_add_f64 v[76:77], v[38:39], v[42:43]
	v_add_f64 v[106:107], v[46:47], v[42:43]
	;; [unrolled: 1-line block ×3, first 2 shown]
	v_fma_f64 v[100:101], v[40:41], s[28:29], v[100:101]
	v_fma_f64 v[108:109], v[40:41], s[28:29], v[74:75]
	;; [unrolled: 1-line block ×3, first 2 shown]
	v_add_f64 v[102:103], v[48:49], v[78:79]
	v_add_f64 v[110:111], v[54:55], v[78:79]
	;; [unrolled: 1-line block ×3, first 2 shown]
	v_add_f64 v[74:75], v[76:77], -v[104:105]
	v_add_f64 v[42:43], v[72:73], v[106:107]
	v_add_f64 v[54:55], v[106:107], -v[72:73]
	v_add_f64 v[50:51], v[36:37], v[44:45]
	;; [unrolled: 2-line block ×3, first 2 shown]
	v_add_f64 v[72:73], v[100:101], v[102:103]
	v_add_f64 v[52:53], v[108:109], v[110:111]
	v_add_f64 v[48:49], v[78:79], -v[40:41]
	v_add_f64 v[44:45], v[40:41], v[78:79]
	v_add_f64 v[40:41], v[110:111], -v[108:109]
	v_add_f64 v[36:37], v[102:103], -v[100:101]
	v_mul_u32_u24_e32 v76, 56, v171
	v_or_b32_e32 v76, v76, v168
	v_lshlrev_b32_e32 v76, 4, v76
	ds_write_b128 v76, v[32:35]
	ds_write_b128 v76, v[72:75] offset:128
	ds_write_b128 v76, v[52:55] offset:256
	ds_write_b128 v76, v[48:51] offset:384
	ds_write_b128 v76, v[44:47] offset:512
	ds_write_b128 v76, v[40:43] offset:640
	ds_write_b128 v76, v[36:39] offset:768
.LBB0_21:
	s_or_b32 exec_lo, exec_lo, s1
	s_waitcnt lgkmcnt(0)
	s_barrier
	buffer_gl0_inv
	ds_read_b128 v[32:35], v165 offset:1792
	ds_read_b128 v[36:39], v165 offset:3584
	;; [unrolled: 1-line block ×8, first 2 shown]
	s_mov_b32 s2, 0x134454ff
	s_mov_b32 s3, 0xbfee6f0e
	s_mov_b32 s13, 0x3fee6f0e
	s_mov_b32 s12, s2
	s_mov_b32 s0, 0x4755a5e
	s_mov_b32 s1, 0xbfe2cf23
	s_mov_b32 s5, 0x3fe2cf23
	s_mov_b32 s4, s0
	s_waitcnt lgkmcnt(7)
	v_mul_f64 v[100:101], v[70:71], v[34:35]
	s_waitcnt lgkmcnt(6)
	v_mul_f64 v[104:105], v[66:67], v[38:39]
	v_mul_f64 v[106:107], v[66:67], v[36:37]
	s_waitcnt lgkmcnt(5)
	v_mul_f64 v[108:109], v[62:63], v[42:43]
	v_mul_f64 v[112:113], v[62:63], v[40:41]
	;; [unrolled: 1-line block ×3, first 2 shown]
	s_waitcnt lgkmcnt(4)
	v_mul_f64 v[110:111], v[58:59], v[44:45]
	v_mul_f64 v[114:115], v[58:59], v[46:47]
	s_waitcnt lgkmcnt(3)
	v_mul_f64 v[116:117], v[70:71], v[50:51]
	v_mul_f64 v[70:71], v[70:71], v[48:49]
	;; [unrolled: 3-line block ×5, first 2 shown]
	v_fma_f64 v[100:101], v[68:69], v[32:33], v[100:101]
	v_fma_f64 v[104:105], v[64:65], v[36:37], v[104:105]
	v_fma_f64 v[106:107], v[64:65], v[38:39], -v[106:107]
	v_fma_f64 v[40:41], v[60:61], v[40:41], v[108:109]
	v_fma_f64 v[42:43], v[60:61], v[42:43], -v[112:113]
	v_fma_f64 v[102:103], v[68:69], v[34:35], -v[102:103]
	v_fma_f64 v[46:47], v[56:57], v[46:47], -v[110:111]
	v_fma_f64 v[44:45], v[56:57], v[44:45], v[114:115]
	v_fma_f64 v[48:49], v[68:69], v[48:49], v[116:117]
	v_fma_f64 v[50:51], v[68:69], v[50:51], -v[70:71]
	v_fma_f64 v[52:53], v[64:65], v[52:53], v[118:119]
	v_fma_f64 v[54:55], v[64:65], v[54:55], -v[66:67]
	;; [unrolled: 2-line block ×4, first 2 shown]
	ds_read_b128 v[32:35], v165
	ds_read_b128 v[36:39], v165 offset:896
	s_waitcnt lgkmcnt(0)
	s_barrier
	buffer_gl0_inv
	v_add_f64 v[72:73], v[100:101], -v[104:105]
	v_add_f64 v[78:79], v[104:105], -v[100:101]
	v_add_f64 v[62:63], v[104:105], v[40:41]
	v_add_f64 v[112:113], v[106:107], v[42:43]
	v_add_f64 v[116:117], v[102:103], -v[106:107]
	v_add_f64 v[118:119], v[102:103], v[46:47]
	v_add_f64 v[76:77], v[100:101], v[44:45]
	v_add_f64 v[74:75], v[44:45], -v[40:41]
	v_add_f64 v[66:67], v[102:103], -v[46:47]
	;; [unrolled: 1-line block ×4, first 2 shown]
	v_add_f64 v[122:123], v[52:53], v[68:69]
	v_add_f64 v[132:133], v[54:55], v[60:61]
	;; [unrolled: 1-line block ×6, first 2 shown]
	v_add_f64 v[100:101], v[100:101], -v[44:45]
	v_add_f64 v[114:115], v[104:105], -v[40:41]
	v_add_f64 v[102:103], v[106:107], -v[102:103]
	v_add_f64 v[124:125], v[42:43], -v[46:47]
	v_add_f64 v[128:129], v[36:37], v[48:49]
	v_add_f64 v[146:147], v[38:39], v[50:51]
	v_add_f64 v[130:131], v[50:51], -v[58:59]
	v_fma_f64 v[62:63], v[62:63], -0.5, v[32:33]
	v_fma_f64 v[112:113], v[112:113], -0.5, v[34:35]
	v_add_f64 v[138:139], v[48:49], -v[52:53]
	v_fma_f64 v[34:35], v[118:119], -0.5, v[34:35]
	v_fma_f64 v[32:33], v[76:77], -0.5, v[32:33]
	v_add_f64 v[142:143], v[52:53], -v[48:49]
	v_add_f64 v[48:49], v[48:49], -v[64:65]
	v_add_f64 v[72:73], v[72:73], v[74:75]
	v_add_f64 v[108:109], v[40:41], -v[44:45]
	v_fma_f64 v[122:123], v[122:123], -0.5, v[36:37]
	v_fma_f64 v[74:75], v[132:133], -0.5, v[38:39]
	v_add_f64 v[136:137], v[54:55], -v[60:61]
	v_add_f64 v[140:141], v[64:65], -v[68:69]
	;; [unrolled: 1-line block ×3, first 2 shown]
	v_fma_f64 v[36:37], v[126:127], -0.5, v[36:37]
	v_fma_f64 v[38:39], v[134:135], -0.5, v[38:39]
	v_add_f64 v[56:57], v[56:57], v[104:105]
	v_add_f64 v[104:105], v[110:111], v[106:107]
	v_add_f64 v[148:149], v[50:51], -v[54:55]
	v_add_f64 v[50:51], v[54:55], -v[50:51]
	;; [unrolled: 1-line block ×3, first 2 shown]
	v_add_f64 v[106:107], v[116:117], v[120:121]
	v_fma_f64 v[110:111], v[66:67], s[2:3], v[62:63]
	v_fma_f64 v[62:63], v[66:67], s[12:13], v[62:63]
	;; [unrolled: 1-line block ×3, first 2 shown]
	v_add_f64 v[102:103], v[102:103], v[124:125]
	v_fma_f64 v[116:117], v[70:71], s[12:13], v[32:33]
	v_fma_f64 v[124:125], v[114:115], s[2:3], v[34:35]
	;; [unrolled: 1-line block ×5, first 2 shown]
	v_add_f64 v[52:53], v[128:129], v[52:53]
	v_add_f64 v[54:55], v[146:147], v[54:55]
	v_add_f64 v[118:119], v[58:59], -v[60:61]
	v_fma_f64 v[128:129], v[130:131], s[2:3], v[122:123]
	v_fma_f64 v[134:135], v[48:49], s[12:13], v[74:75]
	v_add_f64 v[144:145], v[68:69], -v[64:65]
	v_add_f64 v[78:79], v[78:79], v[108:109]
	v_add_f64 v[108:109], v[138:139], v[140:141]
	v_fma_f64 v[122:123], v[130:131], s[12:13], v[122:123]
	v_fma_f64 v[132:133], v[136:137], s[12:13], v[36:37]
	v_fma_f64 v[138:139], v[76:77], s[2:3], v[38:39]
	v_fma_f64 v[36:37], v[136:137], s[2:3], v[36:37]
	v_fma_f64 v[38:39], v[76:77], s[12:13], v[38:39]
	v_fma_f64 v[74:75], v[48:49], s[2:3], v[74:75]
	v_add_f64 v[40:41], v[56:57], v[40:41]
	v_add_f64 v[42:43], v[104:105], v[42:43]
	;; [unrolled: 1-line block ×3, first 2 shown]
	v_fma_f64 v[50:51], v[70:71], s[0:1], v[110:111]
	v_fma_f64 v[56:57], v[70:71], s[4:5], v[62:63]
	;; [unrolled: 1-line block ×8, first 2 shown]
	v_add_f64 v[52:53], v[52:53], v[68:69]
	v_add_f64 v[54:55], v[54:55], v[60:61]
	;; [unrolled: 1-line block ×3, first 2 shown]
	v_fma_f64 v[68:69], v[136:137], s[0:1], v[128:129]
	v_fma_f64 v[120:121], v[76:77], s[4:5], v[134:135]
	v_add_f64 v[126:127], v[142:143], v[144:145]
	v_fma_f64 v[112:113], v[136:137], s[4:5], v[122:123]
	v_fma_f64 v[114:115], v[130:131], s[0:1], v[132:133]
	;; [unrolled: 1-line block ×6, first 2 shown]
	s_mov_b32 s0, 0x372fe950
	s_mov_b32 s1, 0x3fd3c6ef
	v_add_f64 v[32:33], v[40:41], v[44:45]
	v_add_f64 v[34:35], v[42:43], v[46:47]
	v_fma_f64 v[36:37], v[72:73], s[0:1], v[50:51]
	v_fma_f64 v[38:39], v[106:107], s[0:1], v[70:71]
	;; [unrolled: 1-line block ×8, first 2 shown]
	v_add_f64 v[52:53], v[52:53], v[64:65]
	v_add_f64 v[54:55], v[54:55], v[58:59]
	v_fma_f64 v[56:57], v[108:109], s[0:1], v[68:69]
	v_fma_f64 v[58:59], v[118:119], s[0:1], v[120:121]
	;; [unrolled: 1-line block ×8, first 2 shown]
	ds_write_b128 v165, v[32:35]
	ds_write_b128 v165, v[36:39] offset:896
	ds_write_b128 v165, v[44:47] offset:1792
	;; [unrolled: 1-line block ×9, first 2 shown]
	s_waitcnt lgkmcnt(0)
	s_barrier
	buffer_gl0_inv
	ds_read_b128 v[32:35], v165 offset:4480
	ds_read_b128 v[36:39], v165 offset:5376
	;; [unrolled: 1-line block ×6, first 2 shown]
	ds_read_b128 v[56:59], v165
	ds_read_b128 v[60:63], v165 offset:896
	ds_read_b128 v[64:67], v165 offset:1792
	;; [unrolled: 1-line block ×3, first 2 shown]
	s_mul_i32 s0, s9, 0x46
	s_mul_hi_u32 s1, s8, 0x46
	s_mul_i32 s2, s8, 0x46
	s_add_i32 s3, s1, s0
	s_mov_b32 s4, 0x1d41d41d
	s_lshl_b64 s[2:3], s[2:3], 4
	s_mov_b32 s5, 0x3f5d41d4
	s_waitcnt lgkmcnt(9)
	v_mul_f64 v[72:73], v[82:83], v[34:35]
	v_mul_f64 v[74:75], v[82:83], v[32:33]
	s_waitcnt lgkmcnt(8)
	v_mul_f64 v[76:77], v[90:91], v[38:39]
	v_mul_f64 v[78:79], v[90:91], v[36:37]
	;; [unrolled: 3-line block ×5, first 2 shown]
	v_fma_f64 v[32:33], v[80:81], v[32:33], v[72:73]
	v_fma_f64 v[34:35], v[80:81], v[34:35], -v[74:75]
	v_fma_f64 v[36:37], v[88:89], v[36:37], v[76:77]
	v_fma_f64 v[38:39], v[88:89], v[38:39], -v[78:79]
	;; [unrolled: 2-line block ×5, first 2 shown]
	v_mad_u64_u32 v[72:73], null, s10, v164, 0
	v_mad_u64_u32 v[74:75], null, s8, v167, 0
	;; [unrolled: 1-line block ×3, first 2 shown]
	s_waitcnt lgkmcnt(3)
	v_add_f64 v[32:33], v[56:57], -v[32:33]
	v_add_f64 v[34:35], v[58:59], -v[34:35]
	s_waitcnt lgkmcnt(2)
	v_add_f64 v[36:37], v[60:61], -v[36:37]
	v_add_f64 v[38:39], v[62:63], -v[38:39]
	;; [unrolled: 3-line block ×4, first 2 shown]
	v_add_f64 v[48:49], v[52:53], -v[48:49]
	v_add_f64 v[50:51], v[54:55], -v[50:51]
	v_mad_u64_u32 v[77:78], null, s9, v167, v[75:76]
	v_mov_b32_e32 v73, v76
	v_lshlrev_b64 v[72:73], 4, v[72:73]
	v_mov_b32_e32 v75, v77
	v_fma_f64 v[56:57], v[56:57], 2.0, -v[32:33]
	v_fma_f64 v[58:59], v[58:59], 2.0, -v[34:35]
	;; [unrolled: 1-line block ×10, first 2 shown]
	ds_write_b128 v165, v[32:35] offset:4480
	ds_write_b128 v165, v[36:39] offset:5376
	;; [unrolled: 1-line block ×5, first 2 shown]
	ds_write_b128 v165, v[56:59]
	ds_write_b128 v165, v[60:63] offset:896
	ds_write_b128 v165, v[64:67] offset:1792
	ds_write_b128 v165, v[68:71] offset:2688
	ds_write_b128 v165, v[52:55] offset:3584
	s_waitcnt lgkmcnt(0)
	s_barrier
	buffer_gl0_inv
	ds_read_b128 v[34:37], v165
	ds_read_b128 v[38:41], v165 offset:1120
	ds_read_b128 v[42:45], v165 offset:2240
	;; [unrolled: 1-line block ×7, first 2 shown]
	v_lshlrev_b64 v[74:75], 4, v[74:75]
	v_add_co_u32 v32, s0, s14, v72
	v_add_co_ci_u32_e64 v33, s0, s15, v73, s0
	v_add_co_u32 v66, s0, v32, v74
	v_add_co_ci_u32_e64 v67, s0, v33, v75, s0
	v_add_co_u32 v68, s0, v66, s2
	v_add_co_ci_u32_e64 v69, s0, s3, v67, s0
	s_waitcnt lgkmcnt(7)
	v_mul_f64 v[70:71], v[2:3], v[36:37]
	v_mul_f64 v[2:3], v[2:3], v[34:35]
	s_waitcnt lgkmcnt(6)
	v_mul_f64 v[72:73], v[6:7], v[40:41]
	v_mul_f64 v[6:7], v[6:7], v[38:39]
	;; [unrolled: 3-line block ×7, first 2 shown]
	v_mul_f64 v[82:83], v[26:27], v[60:61]
	v_mul_f64 v[26:27], v[26:27], v[58:59]
	v_add_co_u32 v86, s0, v68, s2
	v_add_co_ci_u32_e64 v87, s0, s3, v69, s0
	v_add_co_u32 v88, s0, v86, s2
	v_fma_f64 v[34:35], v[0:1], v[34:35], v[70:71]
	v_fma_f64 v[0:1], v[0:1], v[36:37], -v[2:3]
	v_fma_f64 v[36:37], v[4:5], v[38:39], v[72:73]
	v_fma_f64 v[38:39], v[4:5], v[40:41], -v[6:7]
	v_fma_f64 v[40:41], v[16:17], v[42:43], v[74:75]
	v_fma_f64 v[16:17], v[16:17], v[44:45], -v[18:19]
	v_fma_f64 v[18:19], v[8:9], v[46:47], v[76:77]
	v_fma_f64 v[42:43], v[8:9], v[48:49], -v[10:11]
	v_fma_f64 v[44:45], v[20:21], v[50:51], v[78:79]
	v_fma_f64 v[20:21], v[20:21], v[52:53], -v[22:23]
	v_fma_f64 v[22:23], v[12:13], v[54:55], v[80:81]
	v_fma_f64 v[46:47], v[12:13], v[56:57], -v[14:15]
	v_fma_f64 v[30:31], v[28:29], v[64:65], -v[30:31]
	v_fma_f64 v[48:49], v[24:25], v[58:59], v[82:83]
	v_fma_f64 v[50:51], v[24:25], v[60:61], -v[26:27]
	v_fma_f64 v[52:53], v[28:29], v[62:63], v[84:85]
	v_add_co_ci_u32_e64 v89, s0, s3, v87, s0
	v_add_co_u32 v54, s0, v88, s2
	v_add_co_ci_u32_e64 v55, s0, s3, v89, s0
	v_mul_f64 v[2:3], v[34:35], s[4:5]
	v_mul_f64 v[4:5], v[0:1], s[4:5]
	;; [unrolled: 1-line block ×13, first 2 shown]
	v_add_co_u32 v30, s0, v54, s2
	v_mul_f64 v[26:27], v[48:49], s[4:5]
	v_mul_f64 v[28:29], v[50:51], s[4:5]
	;; [unrolled: 1-line block ×3, first 2 shown]
	v_add_co_ci_u32_e64 v31, s0, s3, v55, s0
	v_add_co_u32 v38, s0, v30, s2
	v_add_co_ci_u32_e64 v39, s0, s3, v31, s0
	v_add_co_u32 v0, s0, v38, s2
	v_add_co_ci_u32_e64 v1, s0, s3, v39, s0
	global_store_dwordx4 v[66:67], v[2:5], off
	global_store_dwordx4 v[68:69], v[6:9], off
	;; [unrolled: 1-line block ×8, first 2 shown]
	s_and_b32 exec_lo, exec_lo, vcc_lo
	s_cbranch_execz .LBB0_23
; %bb.22:
	s_clause 0x3
	global_load_dwordx4 v[2:5], v[156:157], off offset:896
	global_load_dwordx4 v[6:9], v[156:157], off offset:2016
	;; [unrolled: 1-line block ×4, first 2 shown]
	ds_read_b128 v[18:21], v165 offset:896
	ds_read_b128 v[22:25], v165 offset:2016
	;; [unrolled: 1-line block ×4, first 2 shown]
	s_mul_i32 s0, s9, 0xffffe4e0
	s_sub_i32 s0, s0, s8
	s_waitcnt vmcnt(3) lgkmcnt(3)
	v_mul_f64 v[30:31], v[20:21], v[4:5]
	v_mul_f64 v[4:5], v[18:19], v[4:5]
	s_waitcnt vmcnt(2) lgkmcnt(2)
	v_mul_f64 v[38:39], v[24:25], v[8:9]
	v_mul_f64 v[8:9], v[22:23], v[8:9]
	;; [unrolled: 3-line block ×4, first 2 shown]
	v_fma_f64 v[18:19], v[18:19], v[2:3], v[30:31]
	v_fma_f64 v[2:3], v[2:3], v[20:21], -v[4:5]
	v_fma_f64 v[4:5], v[22:23], v[6:7], v[38:39]
	v_fma_f64 v[6:7], v[6:7], v[24:25], -v[8:9]
	;; [unrolled: 2-line block ×4, first 2 shown]
	v_mad_u64_u32 v[16:17], null, 0xffffe4e0, s8, v[0:1]
	v_lshlrev_b32_e32 v24, 4, v166
	v_add_nc_u32_e32 v17, s0, v17
	v_mul_f64 v[0:1], v[18:19], s[4:5]
	v_mul_f64 v[2:3], v[2:3], s[4:5]
	;; [unrolled: 1-line block ×8, first 2 shown]
	v_add_co_u32 v18, vcc_lo, v16, s2
	v_add_co_ci_u32_e32 v19, vcc_lo, s3, v17, vcc_lo
	v_add_co_u32 v20, vcc_lo, v18, s2
	v_add_co_ci_u32_e32 v21, vcc_lo, s3, v19, vcc_lo
	;; [unrolled: 2-line block ×3, first 2 shown]
	global_store_dwordx4 v[16:17], v[0:3], off
	global_store_dwordx4 v[18:19], v[4:7], off
	;; [unrolled: 1-line block ×4, first 2 shown]
	s_clause 0x1
	global_load_dwordx4 v[0:3], v24, s[6:7]
	global_load_dwordx4 v[4:7], v[158:159], off offset:352
	ds_read_b128 v[8:11], v165 offset:5376
	ds_read_b128 v[12:15], v165 offset:6496
	s_waitcnt vmcnt(1) lgkmcnt(1)
	v_mul_f64 v[16:17], v[10:11], v[2:3]
	v_mul_f64 v[2:3], v[8:9], v[2:3]
	s_waitcnt vmcnt(0) lgkmcnt(0)
	v_mul_f64 v[18:19], v[14:15], v[6:7]
	v_mul_f64 v[6:7], v[12:13], v[6:7]
	v_fma_f64 v[8:9], v[8:9], v[0:1], v[16:17]
	v_fma_f64 v[2:3], v[0:1], v[10:11], -v[2:3]
	v_fma_f64 v[10:11], v[12:13], v[4:5], v[18:19]
	v_fma_f64 v[6:7], v[4:5], v[14:15], -v[6:7]
	v_mad_u64_u32 v[12:13], null, s8, v166, 0
	v_mov_b32_e32 v0, v13
	v_mad_u64_u32 v[13:14], null, s9, v166, v[0:1]
	v_mad_u64_u32 v[14:15], null, 0x8c0, s8, v[22:23]
	v_mul_f64 v[0:1], v[8:9], s[4:5]
	v_mul_f64 v[2:3], v[2:3], s[4:5]
	v_mul_f64 v[4:5], v[10:11], s[4:5]
	v_mul_f64 v[6:7], v[6:7], s[4:5]
	v_lshlrev_b64 v[9:10], 4, v[12:13]
	v_mov_b32_e32 v8, v15
	v_mad_u64_u32 v[11:12], null, 0x8c0, s9, v[8:9]
	v_add_co_u32 v8, vcc_lo, v32, v9
	v_add_co_ci_u32_e32 v9, vcc_lo, v33, v10, vcc_lo
	v_mov_b32_e32 v15, v11
	global_store_dwordx4 v[8:9], v[0:3], off
	global_store_dwordx4 v[14:15], v[4:7], off
	global_load_dwordx4 v[0:3], v[158:159], off offset:1472
	ds_read_b128 v[4:7], v165 offset:7616
	ds_read_b128 v[8:11], v165 offset:8736
	s_waitcnt vmcnt(0) lgkmcnt(1)
	v_mul_f64 v[12:13], v[6:7], v[2:3]
	v_mul_f64 v[2:3], v[4:5], v[2:3]
	v_fma_f64 v[4:5], v[4:5], v[0:1], v[12:13]
	v_fma_f64 v[2:3], v[0:1], v[6:7], -v[2:3]
	v_mul_f64 v[0:1], v[4:5], s[4:5]
	v_mul_f64 v[2:3], v[2:3], s[4:5]
	v_add_co_u32 v4, vcc_lo, v14, s2
	v_add_co_ci_u32_e32 v5, vcc_lo, s3, v15, vcc_lo
	v_add_co_u32 v6, vcc_lo, 0x2000, v156
	v_add_co_ci_u32_e32 v7, vcc_lo, 0, v157, vcc_lo
	global_store_dwordx4 v[4:5], v[0:3], off
	global_load_dwordx4 v[0:3], v[6:7], off offset:544
	v_add_co_u32 v4, vcc_lo, v4, s2
	v_add_co_ci_u32_e32 v5, vcc_lo, s3, v5, vcc_lo
	s_waitcnt vmcnt(0) lgkmcnt(0)
	v_mul_f64 v[6:7], v[10:11], v[2:3]
	v_mul_f64 v[2:3], v[8:9], v[2:3]
	v_fma_f64 v[6:7], v[8:9], v[0:1], v[6:7]
	v_fma_f64 v[2:3], v[0:1], v[10:11], -v[2:3]
	v_mul_f64 v[0:1], v[6:7], s[4:5]
	v_mul_f64 v[2:3], v[2:3], s[4:5]
	global_store_dwordx4 v[4:5], v[0:3], off
.LBB0_23:
	s_endpgm
	.section	.rodata,"a",@progbits
	.p2align	6, 0x0
	.amdhsa_kernel bluestein_single_back_len560_dim1_dp_op_CI_CI
		.amdhsa_group_segment_fixed_size 8960
		.amdhsa_private_segment_fixed_size 0
		.amdhsa_kernarg_size 104
		.amdhsa_user_sgpr_count 6
		.amdhsa_user_sgpr_private_segment_buffer 1
		.amdhsa_user_sgpr_dispatch_ptr 0
		.amdhsa_user_sgpr_queue_ptr 0
		.amdhsa_user_sgpr_kernarg_segment_ptr 1
		.amdhsa_user_sgpr_dispatch_id 0
		.amdhsa_user_sgpr_flat_scratch_init 0
		.amdhsa_user_sgpr_private_segment_size 0
		.amdhsa_wavefront_size32 1
		.amdhsa_uses_dynamic_stack 0
		.amdhsa_system_sgpr_private_segment_wavefront_offset 0
		.amdhsa_system_sgpr_workgroup_id_x 1
		.amdhsa_system_sgpr_workgroup_id_y 0
		.amdhsa_system_sgpr_workgroup_id_z 0
		.amdhsa_system_sgpr_workgroup_info 0
		.amdhsa_system_vgpr_workitem_id 0
		.amdhsa_next_free_vgpr 231
		.amdhsa_next_free_sgpr 32
		.amdhsa_reserve_vcc 1
		.amdhsa_reserve_flat_scratch 0
		.amdhsa_float_round_mode_32 0
		.amdhsa_float_round_mode_16_64 0
		.amdhsa_float_denorm_mode_32 3
		.amdhsa_float_denorm_mode_16_64 3
		.amdhsa_dx10_clamp 1
		.amdhsa_ieee_mode 1
		.amdhsa_fp16_overflow 0
		.amdhsa_workgroup_processor_mode 1
		.amdhsa_memory_ordered 1
		.amdhsa_forward_progress 0
		.amdhsa_shared_vgpr_count 0
		.amdhsa_exception_fp_ieee_invalid_op 0
		.amdhsa_exception_fp_denorm_src 0
		.amdhsa_exception_fp_ieee_div_zero 0
		.amdhsa_exception_fp_ieee_overflow 0
		.amdhsa_exception_fp_ieee_underflow 0
		.amdhsa_exception_fp_ieee_inexact 0
		.amdhsa_exception_int_div_zero 0
	.end_amdhsa_kernel
	.text
.Lfunc_end0:
	.size	bluestein_single_back_len560_dim1_dp_op_CI_CI, .Lfunc_end0-bluestein_single_back_len560_dim1_dp_op_CI_CI
                                        ; -- End function
	.section	.AMDGPU.csdata,"",@progbits
; Kernel info:
; codeLenInByte = 15176
; NumSgprs: 34
; NumVgprs: 231
; ScratchSize: 0
; MemoryBound: 0
; FloatMode: 240
; IeeeMode: 1
; LDSByteSize: 8960 bytes/workgroup (compile time only)
; SGPRBlocks: 4
; VGPRBlocks: 28
; NumSGPRsForWavesPerEU: 34
; NumVGPRsForWavesPerEU: 231
; Occupancy: 4
; WaveLimiterHint : 1
; COMPUTE_PGM_RSRC2:SCRATCH_EN: 0
; COMPUTE_PGM_RSRC2:USER_SGPR: 6
; COMPUTE_PGM_RSRC2:TRAP_HANDLER: 0
; COMPUTE_PGM_RSRC2:TGID_X_EN: 1
; COMPUTE_PGM_RSRC2:TGID_Y_EN: 0
; COMPUTE_PGM_RSRC2:TGID_Z_EN: 0
; COMPUTE_PGM_RSRC2:TIDIG_COMP_CNT: 0
	.text
	.p2alignl 6, 3214868480
	.fill 48, 4, 3214868480
	.type	__hip_cuid_bb7252d854ea5991,@object ; @__hip_cuid_bb7252d854ea5991
	.section	.bss,"aw",@nobits
	.globl	__hip_cuid_bb7252d854ea5991
__hip_cuid_bb7252d854ea5991:
	.byte	0                               ; 0x0
	.size	__hip_cuid_bb7252d854ea5991, 1

	.ident	"AMD clang version 19.0.0git (https://github.com/RadeonOpenCompute/llvm-project roc-6.4.0 25133 c7fe45cf4b819c5991fe208aaa96edf142730f1d)"
	.section	".note.GNU-stack","",@progbits
	.addrsig
	.addrsig_sym __hip_cuid_bb7252d854ea5991
	.amdgpu_metadata
---
amdhsa.kernels:
  - .args:
      - .actual_access:  read_only
        .address_space:  global
        .offset:         0
        .size:           8
        .value_kind:     global_buffer
      - .actual_access:  read_only
        .address_space:  global
        .offset:         8
        .size:           8
        .value_kind:     global_buffer
      - .actual_access:  read_only
        .address_space:  global
        .offset:         16
        .size:           8
        .value_kind:     global_buffer
      - .actual_access:  read_only
        .address_space:  global
        .offset:         24
        .size:           8
        .value_kind:     global_buffer
      - .actual_access:  read_only
        .address_space:  global
        .offset:         32
        .size:           8
        .value_kind:     global_buffer
      - .offset:         40
        .size:           8
        .value_kind:     by_value
      - .address_space:  global
        .offset:         48
        .size:           8
        .value_kind:     global_buffer
      - .address_space:  global
        .offset:         56
        .size:           8
        .value_kind:     global_buffer
      - .address_space:  global
        .offset:         64
        .size:           8
        .value_kind:     global_buffer
      - .address_space:  global
        .offset:         72
        .size:           8
        .value_kind:     global_buffer
      - .offset:         80
        .size:           4
        .value_kind:     by_value
      - .address_space:  global
        .offset:         88
        .size:           8
        .value_kind:     global_buffer
      - .address_space:  global
        .offset:         96
        .size:           8
        .value_kind:     global_buffer
    .group_segment_fixed_size: 8960
    .kernarg_segment_align: 8
    .kernarg_segment_size: 104
    .language:       OpenCL C
    .language_version:
      - 2
      - 0
    .max_flat_workgroup_size: 56
    .name:           bluestein_single_back_len560_dim1_dp_op_CI_CI
    .private_segment_fixed_size: 0
    .sgpr_count:     34
    .sgpr_spill_count: 0
    .symbol:         bluestein_single_back_len560_dim1_dp_op_CI_CI.kd
    .uniform_work_group_size: 1
    .uses_dynamic_stack: false
    .vgpr_count:     231
    .vgpr_spill_count: 0
    .wavefront_size: 32
    .workgroup_processor_mode: 1
amdhsa.target:   amdgcn-amd-amdhsa--gfx1030
amdhsa.version:
  - 1
  - 2
...

	.end_amdgpu_metadata
